;; amdgpu-corpus repo=zjin-lcf/HeCBench kind=compiled arch=gfx906 opt=O3
	.amdgcn_target "amdgcn-amd-amdhsa--gfx906"
	.amdhsa_code_object_version 6
	.text
	.protected	_Z15getOutValOptionPK17optionInputStructPfi ; -- Begin function _Z15getOutValOptionPK17optionInputStructPfi
	.globl	_Z15getOutValOptionPK17optionInputStructPfi
	.p2align	8
	.type	_Z15getOutValOptionPK17optionInputStructPfi,@function
_Z15getOutValOptionPK17optionInputStructPfi: ; @_Z15getOutValOptionPK17optionInputStructPfi
; %bb.0:
	s_load_dword s0, s[4:5], 0x24
	s_load_dword s1, s[4:5], 0x10
	s_waitcnt lgkmcnt(0)
	s_and_b32 s0, s0, 0xffff
	s_mul_i32 s6, s6, s0
	v_add_u32_e32 v7, s6, v0
	v_cmp_gt_i32_e32 vcc, s1, v7
	s_and_saveexec_b64 s[0:1], vcc
	s_cbranch_execz .LBB0_74
; %bb.1:
	s_load_dwordx4 s[0:3], s[4:5], 0x0
	s_mov_b32 s5, 0x800000
	s_mov_b32 s6, 0x3f317217
	;; [unrolled: 1-line block ×3, first 2 shown]
	s_waitcnt lgkmcnt(0)
	v_mov_b32_e32 v0, s0
	v_mov_b32_e32 v1, s1
	v_mad_i64_i32 v[8:9], s[0:1], v7, 36, v[0:1]
	s_mov_b32 s0, 0x3fb8aa3b
	global_load_dwordx3 v[4:6], v[8:9], off offset:16
	global_load_dwordx4 v[0:3], v[8:9], off
	s_mov_b32 s1, 0xc2ce8ed0
	s_waitcnt vmcnt(1)
	v_mul_f32_e32 v4, v4, v5
	s_waitcnt vmcnt(0)
	v_mul_f32_e32 v3, v3, v5
	v_mul_f32_e32 v8, 0x3fb8aa3b, v3
	;; [unrolled: 1-line block ×3, first 2 shown]
	v_fma_f32 v10, v3, s0, -v8
	v_rndne_f32_e32 v11, v8
	v_fma_f32 v12, v4, s0, -v9
	v_rndne_f32_e32 v13, v9
	v_fmac_f32_e32 v10, 0x32a5705f, v3
	v_sub_f32_e32 v8, v8, v11
	v_fmac_f32_e32 v12, 0x32a5705f, v4
	v_sub_f32_e32 v9, v9, v13
	v_add_f32_e32 v8, v8, v10
	v_cvt_i32_f32_e32 v11, v11
	v_add_f32_e32 v9, v9, v12
	v_exp_f32_e32 v8, v8
	v_cvt_i32_f32_e32 v13, v13
	v_exp_f32_e32 v9, v9
	v_cmp_ngt_f32_e32 vcc, s1, v3
	v_ldexp_f32 v8, v8, v11
	s_mov_b32 s0, 0x42b17218
	v_ldexp_f32 v9, v9, v13
	v_cndmask_b32_e32 v8, 0, v8, vcc
	v_cmp_ngt_f32_e32 vcc, s1, v4
	v_mov_b32_e32 v10, 0x7f800000
	v_cndmask_b32_e32 v9, 0, v9, vcc
	v_cmp_nlt_f32_e32 vcc, s0, v3
	v_cndmask_b32_e32 v3, v10, v8, vcc
	v_cmp_nlt_f32_e32 vcc, s0, v4
	v_cndmask_b32_e32 v4, v10, v9, vcc
	v_div_scale_f32 v8, s[0:1], v3, v3, 1.0
	v_div_scale_f32 v9, s[0:1], v4, v4, 1.0
	v_div_scale_f32 v10, vcc, 1.0, v3, 1.0
	v_div_scale_f32 v11, s[0:1], 1.0, v4, 1.0
	v_mul_f32_e32 v6, v6, v6
	v_mul_f32_e32 v5, v5, v6
	;; [unrolled: 1-line block ×3, first 2 shown]
	v_rcp_f32_e32 v12, v8
	v_rcp_f32_e32 v13, v9
	v_fma_f32 v14, -v8, v12, 1.0
	v_fmac_f32_e32 v12, v14, v12
	v_fma_f32 v15, -v9, v13, 1.0
	v_fmac_f32_e32 v13, v15, v13
	v_mul_f32_e32 v14, v10, v12
	v_mul_f32_e32 v15, v11, v13
	v_fma_f32 v16, -v8, v14, v10
	v_fmac_f32_e32 v14, v16, v12
	v_fma_f32 v16, -v9, v15, v11
	v_fmac_f32_e32 v15, v16, v13
	v_fma_f32 v8, -v8, v14, v10
	v_fma_f32 v9, -v9, v15, v11
	v_div_fmas_f32 v8, v8, v12, v14
	s_mov_b64 vcc, s[0:1]
	v_div_fmas_f32 v9, v9, v13, v15
	v_div_fixup_f32 v8, v8, v3, 1.0
	v_mul_f32_e32 v2, v2, v8
	v_div_fixup_f32 v3, v9, v4, 1.0
	v_div_scale_f32 v4, s[0:1], v3, v3, v2
	v_div_scale_f32 v8, vcc, v2, v3, v2
	v_rcp_f32_e32 v9, v4
	v_fma_f32 v10, -v4, v9, 1.0
	v_fmac_f32_e32 v9, v10, v9
	v_mul_f32_e32 v10, v8, v9
	v_fma_f32 v11, -v4, v10, v8
	v_fmac_f32_e32 v10, v11, v9
	v_fma_f32 v4, -v4, v10, v8
	v_div_fmas_f32 v4, v4, v9, v10
	v_mov_b32_e32 v9, 0x260
	v_div_fixup_f32 v2, v4, v3, v2
	v_div_scale_f32 v4, s[0:1], v1, v1, v2
	v_div_scale_f32 v8, vcc, v2, v1, v2
	s_mov_b32 s0, 0xf800000
	v_rcp_f32_e32 v10, v4
	v_fma_f32 v11, -v4, v10, 1.0
	v_fmac_f32_e32 v10, v11, v10
	v_mul_f32_e32 v11, v8, v10
	v_fma_f32 v12, -v4, v11, v8
	v_fmac_f32_e32 v11, v12, v10
	v_fma_f32 v4, -v4, v11, v8
	v_div_fmas_f32 v4, v4, v10, v11
	v_cmp_gt_f32_e32 vcc, s0, v5
	v_cndmask_b32_e32 v5, v5, v6, vcc
	v_sqrt_f32_e32 v6, v5
	v_mov_b32_e32 v8, 0x41b17218
	v_add_u32_e32 v10, -1, v6
	v_add_u32_e32 v11, 1, v6
	v_fma_f32 v12, -v10, v6, v5
	v_fma_f32 v13, -v11, v6, v5
	v_cmp_ge_f32_e64 s[0:1], 0, v12
	v_cndmask_b32_e64 v6, v6, v10, s[0:1]
	v_cmp_lt_f32_e64 s[0:1], 0, v13
	v_cndmask_b32_e64 v6, v6, v11, s[0:1]
	v_mul_f32_e32 v10, 0x37800000, v6
	v_div_fixup_f32 v4, v4, v1, v2
	v_cndmask_b32_e32 v6, v6, v10, vcc
	v_cmp_gt_f32_e32 vcc, s5, v4
	v_cndmask_b32_e64 v10, 0, 32, vcc
	v_ldexp_f32 v4, v4, v10
	v_log_f32_e32 v4, v4
	v_cmp_class_f32_e64 s[0:1], v5, v9
	v_cndmask_b32_e64 v5, v6, v5, s[0:1]
	v_cndmask_b32_e32 v6, 0, v8, vcc
	v_mul_f32_e32 v8, 0x3f317217, v4
	v_fma_f32 v8, v4, s6, -v8
	v_fmac_f32_e32 v8, 0x3377d1cf, v4
	v_fmac_f32_e32 v8, 0x3f317217, v4
	v_cmp_lt_f32_e64 vcc, |v4|, s4
	v_cndmask_b32_e32 v4, v4, v8, vcc
	v_sub_f32_e32 v4, v4, v6
	v_div_scale_f32 v6, s[0:1], v5, v5, v4
	v_div_scale_f32 v8, vcc, v4, v5, v4
	s_mov_b32 s0, 0x3f580000
	v_rcp_f32_e32 v9, v6
	v_fma_f32 v10, -v6, v9, 1.0
	v_fmac_f32_e32 v9, v10, v9
	v_mul_f32_e32 v10, v8, v9
	v_fma_f32 v11, -v6, v10, v8
	v_fmac_f32_e32 v10, v11, v9
	v_fma_f32 v6, -v6, v10, v8
	v_div_fmas_f32 v6, v6, v9, v10
	v_div_fixup_f32 v6, v6, v5, v4
	v_fmac_f32_e32 v6, 0.5, v5
	v_mul_f32_e32 v4, 0x3f3504f3, v6
	v_cmp_nlt_f32_e64 s[0:1], |v4|, s0
	s_and_saveexec_b64 s[4:5], s[0:1]
	s_xor_b64 s[0:1], exec, s[4:5]
	s_cbranch_execz .LBB0_23
; %bb.2:
	s_mov_b32 s4, 0x3fa00000
	v_cmp_nlt_f32_e64 s[4:5], |v4|, s4
	s_and_saveexec_b64 s[6:7], s[4:5]
	s_xor_b64 s[4:5], exec, s[6:7]
	s_cbranch_execz .LBB0_16
; %bb.3:
	s_mov_b32 s6, 0x40c00000
	v_cmp_ge_f32_e64 s[6:7], |v4|, s6
	s_and_saveexec_b64 s[8:9], s[6:7]
	s_xor_b64 s[6:7], exec, s[8:9]
; %bb.4:
	v_cmp_nle_f32_e32 vcc, 0, v4
	v_cndmask_b32_e64 v4, 1.0, -1.0, vcc
; %bb.5:
	s_andn2_saveexec_b64 s[6:7], s[6:7]
	s_cbranch_execz .LBB0_15
; %bb.6:
	v_mul_f32_e32 v8, v4, v4
	v_div_scale_f32 v9, s[8:9], v8, v8, 1.0
	v_div_scale_f32 v10, vcc, 1.0, v8, 1.0
	s_mov_b32 s8, 0x4036db6e
	v_cmp_nlt_f32_e64 s[8:9], |v4|, s8
	v_rcp_f32_e32 v11, v9
	v_fma_f32 v12, -v9, v11, 1.0
	v_fmac_f32_e32 v11, v12, v11
	v_mul_f32_e32 v12, v10, v11
	v_fma_f32 v13, -v9, v12, v10
	v_fmac_f32_e32 v12, v13, v11
	v_fma_f32 v9, -v9, v12, v10
	v_div_fmas_f32 v9, v9, v11, v12
                                        ; implicit-def: $vgpr10
                                        ; implicit-def: $vgpr11
	v_div_fixup_f32 v9, v9, v8, 1.0
	s_and_saveexec_b64 s[10:11], s[8:9]
	s_xor_b64 s[8:9], exec, s[10:11]
	s_cbranch_execz .LBB0_8
; %bb.7:
	v_mov_b32_e32 v10, 0xc480230b
	v_fmac_f32_e32 v10, 0xc3f1c275, v9
	v_mov_b32_e32 v11, 0xc41f6441
	v_fmac_f32_e32 v11, v9, v10
	v_mov_b32_e32 v10, 0xc320a2ea
	v_fmac_f32_e32 v10, v9, v11
	v_mov_b32_e32 v11, 0xc18e104b
	v_fmac_f32_e32 v11, v9, v10
	v_mov_b32_e32 v12, 0xbf4c9dd4
	v_fmac_f32_e32 v12, v9, v11
	v_mov_b32_e32 v10, 0xbc21a092
	v_mov_b32_e32 v11, 0x43ed43a7
	v_fmac_f32_e32 v10, v9, v12
	v_fmac_f32_e32 v11, 0xc1b38712, v9
.LBB0_8:
	s_or_saveexec_b64 s[8:9], s[8:9]
	v_mov_b32_e32 v12, 0x41f2b459
	v_mov_b32_e32 v13, 0x43a2e571
	;; [unrolled: 1-line block ×5, first 2 shown]
	s_xor_b64 exec, exec, s[8:9]
	s_cbranch_execz .LBB0_10
; %bb.9:
	v_mov_b32_e32 v10, 0xc2a2932b
	v_fmac_f32_e32 v10, 0xc11d077e, v9
	v_mov_b32_e32 v11, 0xc3389ae7
	v_fmac_f32_e32 v11, v9, v10
	;; [unrolled: 2-line block ×6, first 2 shown]
	v_mov_b32_e32 v10, 0xbc21a093
	v_mov_b32_e32 v12, 0x40d23f7c
	v_fmac_f32_e32 v10, v9, v11
	v_fmac_f32_e32 v12, 0xbd777f97, v9
	v_mov_b32_e32 v11, 0x42d9451f
	v_fmac_f32_e32 v11, v9, v12
	v_mov_b32_e32 v12, 0x419d35ce
	v_mov_b32_e32 v13, 0x4309a863
	;; [unrolled: 1-line block ×5, first 2 shown]
.LBB0_10:
	s_or_b64 exec, exec, s[8:9]
	v_fmac_f32_e32 v16, v9, v11
	v_fmac_f32_e32 v15, v9, v16
	v_fmac_f32_e32 v14, v9, v15
	v_fmac_f32_e32 v13, v9, v14
	v_fmac_f32_e32 v12, v9, v13
	v_fma_f32 v9, v9, v12, 1.0
	v_div_scale_f32 v11, s[8:9], v9, v9, v10
	v_div_scale_f32 v12, vcc, v10, v9, v10
	v_sub_f32_e32 v8, 0xbf100000, v8
	s_mov_b32 s8, 0x3fb8aa3b
	s_mov_b32 s9, 0xc2ce8ed0
	v_rcp_f32_e32 v13, v11
	v_fma_f32 v14, -v11, v13, 1.0
	v_fmac_f32_e32 v13, v14, v13
	v_mul_f32_e32 v14, v12, v13
	v_fma_f32 v15, -v11, v14, v12
	v_fmac_f32_e32 v14, v15, v13
	v_fma_f32 v11, -v11, v14, v12
	v_div_fmas_f32 v11, v11, v13, v14
	v_and_b32_e32 v12, 0x7fffffff, v4
	v_div_fixup_f32 v9, v11, v9, v10
	v_add_f32_e32 v8, v8, v9
	v_mul_f32_e32 v9, 0x3fb8aa3b, v8
	v_fma_f32 v10, v8, s8, -v9
	v_rndne_f32_e32 v11, v9
	v_fmac_f32_e32 v10, 0x32a5705f, v8
	v_sub_f32_e32 v9, v9, v11
	v_add_f32_e32 v9, v9, v10
	v_cvt_i32_f32_e32 v11, v11
	v_exp_f32_e32 v9, v9
	s_mov_b32 s8, 0x42b17218
	v_cmp_ngt_f32_e32 vcc, s9, v8
	v_mov_b32_e32 v10, 0x7f800000
	v_ldexp_f32 v9, v9, v11
	v_cndmask_b32_e32 v9, 0, v9, vcc
	v_cmp_nlt_f32_e32 vcc, s8, v8
	v_cndmask_b32_e32 v8, v10, v9, vcc
	v_div_scale_f32 v9, s[8:9], v12, v12, v8
	v_div_scale_f32 v10, vcc, v8, v12, v8
	v_rcp_f32_e32 v11, v9
	v_fma_f32 v12, -v9, v11, 1.0
	v_fmac_f32_e32 v11, v12, v11
	v_mul_f32_e32 v12, v10, v11
	v_fma_f32 v13, -v9, v12, v10
	v_fmac_f32_e32 v12, v13, v11
	v_fma_f32 v9, -v9, v12, v10
	v_div_fmas_f32 v9, v9, v11, v12
	v_cmp_le_f32_e32 vcc, 0, v4
	v_div_fixup_f32 v8, v9, |v4|, v8
                                        ; implicit-def: $vgpr4
	s_and_saveexec_b64 s[8:9], vcc
	s_xor_b64 s[8:9], exec, s[8:9]
; %bb.11:
	v_sub_f32_e32 v4, 1.0, v8
                                        ; implicit-def: $vgpr8
; %bb.12:
	s_andn2_saveexec_b64 s[8:9], s[8:9]
; %bb.13:
	v_add_f32_e32 v4, -1.0, v8
; %bb.14:
	s_or_b64 exec, exec, s[8:9]
.LBB0_15:
	s_or_b64 exec, exec, s[6:7]
.LBB0_16:
	s_andn2_saveexec_b64 s[4:5], s[4:5]
	s_cbranch_execz .LBB0_22
; %bb.17:
	v_add_f32_e64 v8, |v4|, -1.0
	v_mov_b32_e32 v9, 0x3d1151b3
	v_fmac_f32_e32 v9, 0xbb0df9c0, v8
	v_mov_b32_e32 v10, 0xbde31cc2
	v_fmac_f32_e32 v10, v8, v9
	;; [unrolled: 2-line block ×11, first 2 shown]
	v_fma_f32 v8, v8, v9, 1.0
	v_div_scale_f32 v9, s[6:7], v8, v8, v10
	v_div_scale_f32 v11, vcc, v10, v8, v10
	v_rcp_f32_e32 v12, v9
	v_fma_f32 v13, -v9, v12, 1.0
	v_fmac_f32_e32 v12, v13, v12
	v_mul_f32_e32 v13, v11, v12
	v_fma_f32 v14, -v9, v13, v11
	v_fmac_f32_e32 v13, v14, v12
	v_fma_f32 v9, -v9, v13, v11
	v_div_fmas_f32 v9, v9, v12, v13
	v_cmp_le_f32_e32 vcc, 0, v4
                                        ; implicit-def: $vgpr4
	v_div_fixup_f32 v8, v9, v8, v10
	s_and_saveexec_b64 s[6:7], vcc
	s_xor_b64 s[6:7], exec, s[6:7]
; %bb.18:
	v_add_f32_e32 v4, 0x3f58560b, v8
                                        ; implicit-def: $vgpr8
; %bb.19:
	s_andn2_saveexec_b64 s[6:7], s[6:7]
; %bb.20:
	v_sub_f32_e32 v4, 0xbf58560b, v8
; %bb.21:
	s_or_b64 exec, exec, s[6:7]
.LBB0_22:
	s_or_b64 exec, exec, s[4:5]
.LBB0_23:
	s_andn2_saveexec_b64 s[0:1], s[0:1]
	s_cbranch_execz .LBB0_33
; %bb.24:
	s_mov_b32 s4, 0x31800000
	v_cmp_nlt_f32_e64 s[4:5], |v4|, s4
	s_and_saveexec_b64 s[6:7], s[4:5]
	s_xor_b64 s[4:5], exec, s[6:7]
	s_cbranch_execz .LBB0_26
; %bb.25:
	v_mul_f32_e32 v8, v4, v4
	v_mov_b32_e32 v9, 0xbbbd1489
	v_fmac_f32_e32 v9, 0xb7c756b1, v8
	v_mov_b32_e32 v10, 0xbce9528f
	v_fmac_f32_e32 v10, v8, v9
	;; [unrolled: 2-line block ×8, first 2 shown]
	v_fma_f32 v8, v8, v11, 1.0
	v_div_scale_f32 v9, s[6:7], v8, v8, v10
	v_div_scale_f32 v11, vcc, v10, v8, v10
	v_rcp_f32_e32 v12, v9
	v_fma_f32 v13, -v9, v12, 1.0
	v_fmac_f32_e32 v12, v13, v12
	v_mul_f32_e32 v13, v11, v12
	v_fma_f32 v14, -v9, v13, v11
	v_fmac_f32_e32 v13, v14, v12
	v_fma_f32 v9, -v9, v13, v11
	v_div_fmas_f32 v9, v9, v12, v13
	v_div_fixup_f32 v8, v9, v8, v10
	v_fmac_f32_e32 v4, v4, v8
.LBB0_26:
	s_andn2_saveexec_b64 s[4:5], s[4:5]
	s_cbranch_execz .LBB0_32
; %bb.27:
	s_mov_b32 s6, 0x2800000
	v_cmp_nlt_f32_e64 s[6:7], |v4|, s6
	s_and_saveexec_b64 s[8:9], s[6:7]
	s_xor_b64 s[6:7], exec, s[8:9]
; %bb.28:
	v_fmac_f32_e32 v4, 0x3e0375d4, v4
; %bb.29:
	s_andn2_saveexec_b64 s[6:7], s[6:7]
; %bb.30:
	v_mul_f32_e32 v8, 0x3f8375d4, v4
	v_fmac_f32_e32 v8, 0x41000000, v4
	v_mul_f32_e32 v4, 0x3e000000, v8
; %bb.31:
	s_or_b64 exec, exec, s[6:7]
.LBB0_32:
	s_or_b64 exec, exec, s[4:5]
.LBB0_33:
	s_or_b64 exec, exec, s[0:1]
	v_sub_f32_e32 v5, v6, v5
	v_mul_f32_e32 v5, 0x3f3504f3, v5
	s_mov_b32 s0, 0x3f580000
	v_cmp_nlt_f32_e64 s[0:1], |v5|, s0
	s_and_saveexec_b64 s[4:5], s[0:1]
	s_xor_b64 s[0:1], exec, s[4:5]
	s_cbranch_execz .LBB0_55
; %bb.34:
	s_mov_b32 s4, 0x3fa00000
	v_cmp_nlt_f32_e64 s[4:5], |v5|, s4
	s_and_saveexec_b64 s[6:7], s[4:5]
	s_xor_b64 s[4:5], exec, s[6:7]
	s_cbranch_execz .LBB0_48
; %bb.35:
	s_mov_b32 s6, 0x40c00000
	v_cmp_ge_f32_e64 s[6:7], |v5|, s6
	s_and_saveexec_b64 s[8:9], s[6:7]
	s_xor_b64 s[6:7], exec, s[8:9]
; %bb.36:
	v_cmp_nle_f32_e32 vcc, 0, v5
	v_cndmask_b32_e64 v5, 1.0, -1.0, vcc
; %bb.37:
	s_andn2_saveexec_b64 s[6:7], s[6:7]
	s_cbranch_execz .LBB0_47
; %bb.38:
	v_mul_f32_e32 v6, v5, v5
	v_div_scale_f32 v8, s[8:9], v6, v6, 1.0
	v_div_scale_f32 v9, vcc, 1.0, v6, 1.0
	s_mov_b32 s8, 0x4036db6e
	v_cmp_nlt_f32_e64 s[8:9], |v5|, s8
	v_rcp_f32_e32 v10, v8
	v_fma_f32 v11, -v8, v10, 1.0
	v_fmac_f32_e32 v10, v11, v10
	v_mul_f32_e32 v11, v9, v10
	v_fma_f32 v12, -v8, v11, v9
	v_fmac_f32_e32 v11, v12, v10
	v_fma_f32 v8, -v8, v11, v9
	v_div_fmas_f32 v8, v8, v10, v11
                                        ; implicit-def: $vgpr9
                                        ; implicit-def: $vgpr10
	v_div_fixup_f32 v8, v8, v6, 1.0
	s_and_saveexec_b64 s[10:11], s[8:9]
	s_xor_b64 s[8:9], exec, s[10:11]
	s_cbranch_execz .LBB0_40
; %bb.39:
	v_mov_b32_e32 v9, 0xc480230b
	v_fmac_f32_e32 v9, 0xc3f1c275, v8
	v_mov_b32_e32 v10, 0xc41f6441
	v_fmac_f32_e32 v10, v8, v9
	;; [unrolled: 2-line block ×5, first 2 shown]
	v_mov_b32_e32 v9, 0xbc21a092
	v_mov_b32_e32 v10, 0x43ed43a7
	v_fmac_f32_e32 v9, v8, v11
	v_fmac_f32_e32 v10, 0xc1b38712, v8
.LBB0_40:
	s_or_saveexec_b64 s[8:9], s[8:9]
	v_mov_b32_e32 v11, 0x41f2b459
	v_mov_b32_e32 v12, 0x43a2e571
	;; [unrolled: 1-line block ×5, first 2 shown]
	s_xor_b64 exec, exec, s[8:9]
	s_cbranch_execz .LBB0_42
; %bb.41:
	v_mov_b32_e32 v9, 0xc2a2932b
	v_fmac_f32_e32 v9, 0xc11d077e, v8
	v_mov_b32_e32 v10, 0xc3389ae7
	v_fmac_f32_e32 v10, v8, v9
	v_mov_b32_e32 v9, 0xc322658c
	v_fmac_f32_e32 v9, v8, v10
	v_mov_b32_e32 v10, 0xc2798057
	v_fmac_f32_e32 v10, v8, v9
	v_mov_b32_e32 v9, 0xc128f022
	v_fmac_f32_e32 v9, v8, v10
	v_mov_b32_e32 v10, 0xbf31a0b7
	v_fmac_f32_e32 v10, v8, v9
	v_mov_b32_e32 v9, 0xbc21a093
	v_mov_b32_e32 v11, 0x40d23f7c
	v_fmac_f32_e32 v9, v8, v10
	v_fmac_f32_e32 v11, 0xbd777f97, v8
	v_mov_b32_e32 v10, 0x42d9451f
	v_fmac_f32_e32 v10, v8, v11
	v_mov_b32_e32 v11, 0x419d35ce
	v_mov_b32_e32 v12, 0x4309a863
	;; [unrolled: 1-line block ×5, first 2 shown]
.LBB0_42:
	s_or_b64 exec, exec, s[8:9]
	v_fmac_f32_e32 v15, v8, v10
	v_fmac_f32_e32 v14, v8, v15
	;; [unrolled: 1-line block ×5, first 2 shown]
	v_fma_f32 v8, v8, v11, 1.0
	v_div_scale_f32 v10, s[8:9], v8, v8, v9
	v_div_scale_f32 v11, vcc, v9, v8, v9
	v_sub_f32_e32 v6, 0xbf100000, v6
	s_mov_b32 s8, 0x3fb8aa3b
	s_mov_b32 s9, 0xc2ce8ed0
	v_rcp_f32_e32 v12, v10
	v_fma_f32 v13, -v10, v12, 1.0
	v_fmac_f32_e32 v12, v13, v12
	v_mul_f32_e32 v13, v11, v12
	v_fma_f32 v14, -v10, v13, v11
	v_fmac_f32_e32 v13, v14, v12
	v_fma_f32 v10, -v10, v13, v11
	v_div_fmas_f32 v10, v10, v12, v13
	v_and_b32_e32 v11, 0x7fffffff, v5
	v_div_fixup_f32 v8, v10, v8, v9
	v_add_f32_e32 v6, v6, v8
	v_mul_f32_e32 v8, 0x3fb8aa3b, v6
	v_fma_f32 v9, v6, s8, -v8
	v_rndne_f32_e32 v10, v8
	v_fmac_f32_e32 v9, 0x32a5705f, v6
	v_sub_f32_e32 v8, v8, v10
	v_add_f32_e32 v8, v8, v9
	v_cvt_i32_f32_e32 v10, v10
	v_exp_f32_e32 v8, v8
	s_mov_b32 s8, 0x42b17218
	v_cmp_ngt_f32_e32 vcc, s9, v6
	v_mov_b32_e32 v9, 0x7f800000
	v_ldexp_f32 v8, v8, v10
	v_cndmask_b32_e32 v8, 0, v8, vcc
	v_cmp_nlt_f32_e32 vcc, s8, v6
	v_cndmask_b32_e32 v6, v9, v8, vcc
	v_div_scale_f32 v8, s[8:9], v11, v11, v6
	v_div_scale_f32 v9, vcc, v6, v11, v6
	v_rcp_f32_e32 v10, v8
	v_fma_f32 v11, -v8, v10, 1.0
	v_fmac_f32_e32 v10, v11, v10
	v_mul_f32_e32 v11, v9, v10
	v_fma_f32 v12, -v8, v11, v9
	v_fmac_f32_e32 v11, v12, v10
	v_fma_f32 v8, -v8, v11, v9
	v_div_fmas_f32 v8, v8, v10, v11
	v_cmp_le_f32_e32 vcc, 0, v5
	v_div_fixup_f32 v6, v8, |v5|, v6
                                        ; implicit-def: $vgpr5
	s_and_saveexec_b64 s[8:9], vcc
	s_xor_b64 s[8:9], exec, s[8:9]
; %bb.43:
	v_sub_f32_e32 v5, 1.0, v6
                                        ; implicit-def: $vgpr6
; %bb.44:
	s_andn2_saveexec_b64 s[8:9], s[8:9]
; %bb.45:
	v_add_f32_e32 v5, -1.0, v6
; %bb.46:
	s_or_b64 exec, exec, s[8:9]
.LBB0_47:
	s_or_b64 exec, exec, s[6:7]
.LBB0_48:
	s_andn2_saveexec_b64 s[4:5], s[4:5]
	s_cbranch_execz .LBB0_54
; %bb.49:
	v_add_f32_e64 v6, |v5|, -1.0
	v_mov_b32_e32 v8, 0x3d1151b3
	v_fmac_f32_e32 v8, 0xbb0df9c0, v6
	v_mov_b32_e32 v9, 0xbde31cc2
	v_fmac_f32_e32 v9, v6, v8
	;; [unrolled: 2-line block ×11, first 2 shown]
	v_fma_f32 v6, v6, v8, 1.0
	v_div_scale_f32 v8, s[6:7], v6, v6, v9
	v_div_scale_f32 v10, vcc, v9, v6, v9
	v_rcp_f32_e32 v11, v8
	v_fma_f32 v12, -v8, v11, 1.0
	v_fmac_f32_e32 v11, v12, v11
	v_mul_f32_e32 v12, v10, v11
	v_fma_f32 v13, -v8, v12, v10
	v_fmac_f32_e32 v12, v13, v11
	v_fma_f32 v8, -v8, v12, v10
	v_div_fmas_f32 v8, v8, v11, v12
	v_cmp_le_f32_e32 vcc, 0, v5
                                        ; implicit-def: $vgpr5
	v_div_fixup_f32 v6, v8, v6, v9
	s_and_saveexec_b64 s[6:7], vcc
	s_xor_b64 s[6:7], exec, s[6:7]
; %bb.50:
	v_add_f32_e32 v5, 0x3f58560b, v6
                                        ; implicit-def: $vgpr6
; %bb.51:
	s_andn2_saveexec_b64 s[6:7], s[6:7]
; %bb.52:
	v_sub_f32_e32 v5, 0xbf58560b, v6
; %bb.53:
	s_or_b64 exec, exec, s[6:7]
.LBB0_54:
	s_or_b64 exec, exec, s[4:5]
.LBB0_55:
	s_or_saveexec_b64 s[0:1], s[0:1]
	v_ashrrev_i32_e32 v8, 31, v7
	s_xor_b64 exec, exec, s[0:1]
	s_cbranch_execz .LBB0_65
; %bb.56:
	s_mov_b32 s4, 0x31800000
	v_cmp_nlt_f32_e64 s[4:5], |v5|, s4
	s_and_saveexec_b64 s[6:7], s[4:5]
	s_xor_b64 s[4:5], exec, s[6:7]
	s_cbranch_execz .LBB0_58
; %bb.57:
	v_mul_f32_e32 v6, v5, v5
	v_mov_b32_e32 v9, 0xbbbd1489
	v_fmac_f32_e32 v9, 0xb7c756b1, v6
	v_mov_b32_e32 v10, 0xbce9528f
	v_fmac_f32_e32 v10, v6, v9
	;; [unrolled: 2-line block ×8, first 2 shown]
	v_fma_f32 v6, v6, v11, 1.0
	v_div_scale_f32 v9, s[6:7], v6, v6, v10
	v_div_scale_f32 v11, vcc, v10, v6, v10
	v_rcp_f32_e32 v12, v9
	v_fma_f32 v13, -v9, v12, 1.0
	v_fmac_f32_e32 v12, v13, v12
	v_mul_f32_e32 v13, v11, v12
	v_fma_f32 v14, -v9, v13, v11
	v_fmac_f32_e32 v13, v14, v12
	v_fma_f32 v9, -v9, v13, v11
	v_div_fmas_f32 v9, v9, v12, v13
	v_div_fixup_f32 v6, v9, v6, v10
	v_fmac_f32_e32 v5, v5, v6
.LBB0_58:
	s_andn2_saveexec_b64 s[4:5], s[4:5]
	s_cbranch_execz .LBB0_64
; %bb.59:
	s_mov_b32 s6, 0x2800000
	v_cmp_nlt_f32_e64 s[6:7], |v5|, s6
	s_and_saveexec_b64 s[8:9], s[6:7]
	s_xor_b64 s[6:7], exec, s[8:9]
; %bb.60:
	v_fmac_f32_e32 v5, 0x3e0375d4, v5
; %bb.61:
	s_andn2_saveexec_b64 s[6:7], s[6:7]
; %bb.62:
	v_mul_f32_e32 v6, 0x3f8375d4, v5
	v_fmac_f32_e32 v6, 0x41000000, v5
	v_mul_f32_e32 v5, 0x3e000000, v6
; %bb.63:
	s_or_b64 exec, exec, s[6:7]
.LBB0_64:
	s_or_b64 exec, exec, s[4:5]
.LBB0_65:
	s_or_b64 exec, exec, s[0:1]
	v_add_f32_e32 v5, 1.0, v5
	v_add_f32_e32 v4, 1.0, v4
	v_mul_f32_e32 v6, 0.5, v5
	v_mul_f32_e32 v4, 0.5, v4
	v_cmp_lt_i32_e32 vcc, 0, v0
                                        ; implicit-def: $vgpr5
	s_and_saveexec_b64 s[0:1], vcc
	s_xor_b64 s[0:1], exec, s[0:1]
	s_cbranch_execz .LBB0_69
; %bb.66:
	v_cmp_eq_u32_e32 vcc, 1, v0
                                        ; implicit-def: $vgpr5
	s_and_saveexec_b64 s[4:5], vcc
; %bb.67:
	v_add_f32_e32 v4, -1.0, v4
	v_sub_f32_e32 v5, 1.0, v6
; %bb.68:
	s_or_b64 exec, exec, s[4:5]
                                        ; implicit-def: $vgpr6
.LBB0_69:
	s_andn2_saveexec_b64 s[0:1], s[0:1]
	s_cbranch_execz .LBB0_73
; %bb.70:
	v_cmp_eq_u32_e32 vcc, 0, v0
                                        ; implicit-def: $vgpr5
	s_and_saveexec_b64 s[4:5], vcc
; %bb.71:
	v_xor_b32_e32 v5, 0x80000000, v6
; %bb.72:
	s_or_b64 exec, exec, s[4:5]
.LBB0_73:
	s_or_b64 exec, exec, s[0:1]
	v_mul_f32_e32 v0, v1, v5
	v_fmac_f32_e32 v0, v2, v4
	v_mul_f32_e32 v2, v3, v0
	v_lshlrev_b64 v[0:1], 2, v[7:8]
	v_mov_b32_e32 v3, s3
	v_add_co_u32_e32 v0, vcc, s2, v0
	v_addc_co_u32_e32 v1, vcc, v3, v1, vcc
	global_store_dword v[0:1], v2, off
.LBB0_74:
	s_endpgm
	.section	.rodata,"a",@progbits
	.p2align	6, 0x0
	.amdhsa_kernel _Z15getOutValOptionPK17optionInputStructPfi
		.amdhsa_group_segment_fixed_size 0
		.amdhsa_private_segment_fixed_size 0
		.amdhsa_kernarg_size 280
		.amdhsa_user_sgpr_count 6
		.amdhsa_user_sgpr_private_segment_buffer 1
		.amdhsa_user_sgpr_dispatch_ptr 0
		.amdhsa_user_sgpr_queue_ptr 0
		.amdhsa_user_sgpr_kernarg_segment_ptr 1
		.amdhsa_user_sgpr_dispatch_id 0
		.amdhsa_user_sgpr_flat_scratch_init 0
		.amdhsa_user_sgpr_private_segment_size 0
		.amdhsa_uses_dynamic_stack 0
		.amdhsa_system_sgpr_private_segment_wavefront_offset 0
		.amdhsa_system_sgpr_workgroup_id_x 1
		.amdhsa_system_sgpr_workgroup_id_y 0
		.amdhsa_system_sgpr_workgroup_id_z 0
		.amdhsa_system_sgpr_workgroup_info 0
		.amdhsa_system_vgpr_workitem_id 0
		.amdhsa_next_free_vgpr 17
		.amdhsa_next_free_sgpr 12
		.amdhsa_reserve_vcc 1
		.amdhsa_reserve_flat_scratch 0
		.amdhsa_float_round_mode_32 0
		.amdhsa_float_round_mode_16_64 0
		.amdhsa_float_denorm_mode_32 3
		.amdhsa_float_denorm_mode_16_64 3
		.amdhsa_dx10_clamp 1
		.amdhsa_ieee_mode 1
		.amdhsa_fp16_overflow 0
		.amdhsa_exception_fp_ieee_invalid_op 0
		.amdhsa_exception_fp_denorm_src 0
		.amdhsa_exception_fp_ieee_div_zero 0
		.amdhsa_exception_fp_ieee_overflow 0
		.amdhsa_exception_fp_ieee_underflow 0
		.amdhsa_exception_fp_ieee_inexact 0
		.amdhsa_exception_int_div_zero 0
	.end_amdhsa_kernel
	.text
.Lfunc_end0:
	.size	_Z15getOutValOptionPK17optionInputStructPfi, .Lfunc_end0-_Z15getOutValOptionPK17optionInputStructPfi
                                        ; -- End function
	.set _Z15getOutValOptionPK17optionInputStructPfi.num_vgpr, 17
	.set _Z15getOutValOptionPK17optionInputStructPfi.num_agpr, 0
	.set _Z15getOutValOptionPK17optionInputStructPfi.numbered_sgpr, 12
	.set _Z15getOutValOptionPK17optionInputStructPfi.num_named_barrier, 0
	.set _Z15getOutValOptionPK17optionInputStructPfi.private_seg_size, 0
	.set _Z15getOutValOptionPK17optionInputStructPfi.uses_vcc, 1
	.set _Z15getOutValOptionPK17optionInputStructPfi.uses_flat_scratch, 0
	.set _Z15getOutValOptionPK17optionInputStructPfi.has_dyn_sized_stack, 0
	.set _Z15getOutValOptionPK17optionInputStructPfi.has_recursion, 0
	.set _Z15getOutValOptionPK17optionInputStructPfi.has_indirect_call, 0
	.section	.AMDGPU.csdata,"",@progbits
; Kernel info:
; codeLenInByte = 3872
; TotalNumSgprs: 16
; NumVgprs: 17
; ScratchSize: 0
; MemoryBound: 0
; FloatMode: 240
; IeeeMode: 1
; LDSByteSize: 0 bytes/workgroup (compile time only)
; SGPRBlocks: 1
; VGPRBlocks: 4
; NumSGPRsForWavesPerEU: 16
; NumVGPRsForWavesPerEU: 17
; Occupancy: 10
; WaveLimiterHint : 0
; COMPUTE_PGM_RSRC2:SCRATCH_EN: 0
; COMPUTE_PGM_RSRC2:USER_SGPR: 6
; COMPUTE_PGM_RSRC2:TRAP_HANDLER: 0
; COMPUTE_PGM_RSRC2:TGID_X_EN: 1
; COMPUTE_PGM_RSRC2:TGID_Y_EN: 0
; COMPUTE_PGM_RSRC2:TGID_Z_EN: 0
; COMPUTE_PGM_RSRC2:TIDIG_COMP_CNT: 0
	.section	.AMDGPU.gpr_maximums,"",@progbits
	.set amdgpu.max_num_vgpr, 0
	.set amdgpu.max_num_agpr, 0
	.set amdgpu.max_num_sgpr, 0
	.section	.AMDGPU.csdata,"",@progbits
	.type	__hip_cuid_ad5469ccbe59a9e7,@object ; @__hip_cuid_ad5469ccbe59a9e7
	.section	.bss,"aw",@nobits
	.globl	__hip_cuid_ad5469ccbe59a9e7
__hip_cuid_ad5469ccbe59a9e7:
	.byte	0                               ; 0x0
	.size	__hip_cuid_ad5469ccbe59a9e7, 1

	.ident	"AMD clang version 22.0.0git (https://github.com/RadeonOpenCompute/llvm-project roc-7.2.4 26084 f58b06dce1f9c15707c5f808fd002e18c2accf7e)"
	.section	".note.GNU-stack","",@progbits
	.addrsig
	.addrsig_sym __hip_cuid_ad5469ccbe59a9e7
	.amdgpu_metadata
---
amdhsa.kernels:
  - .args:
      - .address_space:  global
        .offset:         0
        .size:           8
        .value_kind:     global_buffer
      - .address_space:  global
        .offset:         8
        .size:           8
        .value_kind:     global_buffer
      - .offset:         16
        .size:           4
        .value_kind:     by_value
      - .offset:         24
        .size:           4
        .value_kind:     hidden_block_count_x
      - .offset:         28
        .size:           4
        .value_kind:     hidden_block_count_y
      - .offset:         32
        .size:           4
        .value_kind:     hidden_block_count_z
      - .offset:         36
        .size:           2
        .value_kind:     hidden_group_size_x
      - .offset:         38
        .size:           2
        .value_kind:     hidden_group_size_y
      - .offset:         40
        .size:           2
        .value_kind:     hidden_group_size_z
      - .offset:         42
        .size:           2
        .value_kind:     hidden_remainder_x
      - .offset:         44
        .size:           2
        .value_kind:     hidden_remainder_y
      - .offset:         46
        .size:           2
        .value_kind:     hidden_remainder_z
      - .offset:         64
        .size:           8
        .value_kind:     hidden_global_offset_x
      - .offset:         72
        .size:           8
        .value_kind:     hidden_global_offset_y
      - .offset:         80
        .size:           8
        .value_kind:     hidden_global_offset_z
      - .offset:         88
        .size:           2
        .value_kind:     hidden_grid_dims
    .group_segment_fixed_size: 0
    .kernarg_segment_align: 8
    .kernarg_segment_size: 280
    .language:       OpenCL C
    .language_version:
      - 2
      - 0
    .max_flat_workgroup_size: 1024
    .name:           _Z15getOutValOptionPK17optionInputStructPfi
    .private_segment_fixed_size: 0
    .sgpr_count:     16
    .sgpr_spill_count: 0
    .symbol:         _Z15getOutValOptionPK17optionInputStructPfi.kd
    .uniform_work_group_size: 1
    .uses_dynamic_stack: false
    .vgpr_count:     17
    .vgpr_spill_count: 0
    .wavefront_size: 64
amdhsa.target:   amdgcn-amd-amdhsa--gfx906
amdhsa.version:
  - 1
  - 2
...

	.end_amdgpu_metadata
